;; amdgpu-corpus repo=ROCm/rocFFT kind=compiled arch=gfx906 opt=O3
	.text
	.amdgcn_target "amdgcn-amd-amdhsa--gfx906"
	.amdhsa_code_object_version 6
	.protected	fft_rtc_back_len504_factors_7_9_4_2_wgs_63_tpt_63_half_ip_CI_unitstride_sbrr_C2R_dirReg ; -- Begin function fft_rtc_back_len504_factors_7_9_4_2_wgs_63_tpt_63_half_ip_CI_unitstride_sbrr_C2R_dirReg
	.globl	fft_rtc_back_len504_factors_7_9_4_2_wgs_63_tpt_63_half_ip_CI_unitstride_sbrr_C2R_dirReg
	.p2align	8
	.type	fft_rtc_back_len504_factors_7_9_4_2_wgs_63_tpt_63_half_ip_CI_unitstride_sbrr_C2R_dirReg,@function
fft_rtc_back_len504_factors_7_9_4_2_wgs_63_tpt_63_half_ip_CI_unitstride_sbrr_C2R_dirReg: ; @fft_rtc_back_len504_factors_7_9_4_2_wgs_63_tpt_63_half_ip_CI_unitstride_sbrr_C2R_dirReg
; %bb.0:
	s_load_dwordx2 s[2:3], s[4:5], 0x50
	s_load_dwordx4 s[8:11], s[4:5], 0x0
	s_load_dwordx2 s[12:13], s[4:5], 0x18
	v_mul_u32_u24_e32 v1, 0x411, v0
	v_add_u32_sdwa v5, s6, v1 dst_sel:DWORD dst_unused:UNUSED_PAD src0_sel:DWORD src1_sel:WORD_1
	v_mov_b32_e32 v3, 0
	s_waitcnt lgkmcnt(0)
	v_cmp_lt_u64_e64 s[0:1], s[10:11], 2
	v_mov_b32_e32 v1, 0
	v_mov_b32_e32 v6, v3
	s_and_b64 vcc, exec, s[0:1]
	v_mov_b32_e32 v2, 0
	s_cbranch_vccnz .LBB0_8
; %bb.1:
	s_load_dwordx2 s[0:1], s[4:5], 0x10
	s_add_u32 s6, s12, 8
	s_addc_u32 s7, s13, 0
	v_mov_b32_e32 v1, 0
	v_mov_b32_e32 v2, 0
	s_waitcnt lgkmcnt(0)
	s_add_u32 s14, s0, 8
	s_addc_u32 s15, s1, 0
	s_mov_b64 s[16:17], 1
.LBB0_2:                                ; =>This Inner Loop Header: Depth=1
	s_load_dwordx2 s[18:19], s[14:15], 0x0
                                        ; implicit-def: $vgpr7_vgpr8
	s_waitcnt lgkmcnt(0)
	v_or_b32_e32 v4, s19, v6
	v_cmp_ne_u64_e32 vcc, 0, v[3:4]
	s_and_saveexec_b64 s[0:1], vcc
	s_xor_b64 s[20:21], exec, s[0:1]
	s_cbranch_execz .LBB0_4
; %bb.3:                                ;   in Loop: Header=BB0_2 Depth=1
	v_cvt_f32_u32_e32 v4, s18
	v_cvt_f32_u32_e32 v7, s19
	s_sub_u32 s0, 0, s18
	s_subb_u32 s1, 0, s19
	v_mac_f32_e32 v4, 0x4f800000, v7
	v_rcp_f32_e32 v4, v4
	v_mul_f32_e32 v4, 0x5f7ffffc, v4
	v_mul_f32_e32 v7, 0x2f800000, v4
	v_trunc_f32_e32 v7, v7
	v_mac_f32_e32 v4, 0xcf800000, v7
	v_cvt_u32_f32_e32 v7, v7
	v_cvt_u32_f32_e32 v4, v4
	v_mul_lo_u32 v8, s0, v7
	v_mul_hi_u32 v9, s0, v4
	v_mul_lo_u32 v11, s1, v4
	v_mul_lo_u32 v10, s0, v4
	v_add_u32_e32 v8, v9, v8
	v_add_u32_e32 v8, v8, v11
	v_mul_hi_u32 v9, v4, v10
	v_mul_lo_u32 v11, v4, v8
	v_mul_hi_u32 v13, v4, v8
	v_mul_hi_u32 v12, v7, v10
	v_mul_lo_u32 v10, v7, v10
	v_mul_hi_u32 v14, v7, v8
	v_add_co_u32_e32 v9, vcc, v9, v11
	v_addc_co_u32_e32 v11, vcc, 0, v13, vcc
	v_mul_lo_u32 v8, v7, v8
	v_add_co_u32_e32 v9, vcc, v9, v10
	v_addc_co_u32_e32 v9, vcc, v11, v12, vcc
	v_addc_co_u32_e32 v10, vcc, 0, v14, vcc
	v_add_co_u32_e32 v8, vcc, v9, v8
	v_addc_co_u32_e32 v9, vcc, 0, v10, vcc
	v_add_co_u32_e32 v4, vcc, v4, v8
	v_addc_co_u32_e32 v7, vcc, v7, v9, vcc
	v_mul_lo_u32 v8, s0, v7
	v_mul_hi_u32 v9, s0, v4
	v_mul_lo_u32 v10, s1, v4
	v_mul_lo_u32 v11, s0, v4
	v_add_u32_e32 v8, v9, v8
	v_add_u32_e32 v8, v8, v10
	v_mul_lo_u32 v12, v4, v8
	v_mul_hi_u32 v13, v4, v11
	v_mul_hi_u32 v14, v4, v8
	;; [unrolled: 1-line block ×3, first 2 shown]
	v_mul_lo_u32 v11, v7, v11
	v_mul_hi_u32 v9, v7, v8
	v_add_co_u32_e32 v12, vcc, v13, v12
	v_addc_co_u32_e32 v13, vcc, 0, v14, vcc
	v_mul_lo_u32 v8, v7, v8
	v_add_co_u32_e32 v11, vcc, v12, v11
	v_addc_co_u32_e32 v10, vcc, v13, v10, vcc
	v_addc_co_u32_e32 v9, vcc, 0, v9, vcc
	v_add_co_u32_e32 v8, vcc, v10, v8
	v_addc_co_u32_e32 v9, vcc, 0, v9, vcc
	v_add_co_u32_e32 v4, vcc, v4, v8
	v_addc_co_u32_e32 v9, vcc, v7, v9, vcc
	v_mad_u64_u32 v[7:8], s[0:1], v5, v9, 0
	v_mul_hi_u32 v10, v5, v4
	v_add_co_u32_e32 v11, vcc, v10, v7
	v_addc_co_u32_e32 v12, vcc, 0, v8, vcc
	v_mad_u64_u32 v[7:8], s[0:1], v6, v4, 0
	v_mad_u64_u32 v[9:10], s[0:1], v6, v9, 0
	v_add_co_u32_e32 v4, vcc, v11, v7
	v_addc_co_u32_e32 v4, vcc, v12, v8, vcc
	v_addc_co_u32_e32 v7, vcc, 0, v10, vcc
	v_add_co_u32_e32 v4, vcc, v4, v9
	v_addc_co_u32_e32 v9, vcc, 0, v7, vcc
	v_mul_lo_u32 v10, s19, v4
	v_mul_lo_u32 v11, s18, v9
	v_mad_u64_u32 v[7:8], s[0:1], s18, v4, 0
	v_add3_u32 v8, v8, v11, v10
	v_sub_u32_e32 v10, v6, v8
	v_mov_b32_e32 v11, s19
	v_sub_co_u32_e32 v7, vcc, v5, v7
	v_subb_co_u32_e64 v10, s[0:1], v10, v11, vcc
	v_subrev_co_u32_e64 v11, s[0:1], s18, v7
	v_subbrev_co_u32_e64 v10, s[0:1], 0, v10, s[0:1]
	v_cmp_le_u32_e64 s[0:1], s19, v10
	v_cndmask_b32_e64 v12, 0, -1, s[0:1]
	v_cmp_le_u32_e64 s[0:1], s18, v11
	v_cndmask_b32_e64 v11, 0, -1, s[0:1]
	v_cmp_eq_u32_e64 s[0:1], s19, v10
	v_cndmask_b32_e64 v10, v12, v11, s[0:1]
	v_add_co_u32_e64 v11, s[0:1], 2, v4
	v_addc_co_u32_e64 v12, s[0:1], 0, v9, s[0:1]
	v_add_co_u32_e64 v13, s[0:1], 1, v4
	v_addc_co_u32_e64 v14, s[0:1], 0, v9, s[0:1]
	v_subb_co_u32_e32 v8, vcc, v6, v8, vcc
	v_cmp_ne_u32_e64 s[0:1], 0, v10
	v_cmp_le_u32_e32 vcc, s19, v8
	v_cndmask_b32_e64 v10, v14, v12, s[0:1]
	v_cndmask_b32_e64 v12, 0, -1, vcc
	v_cmp_le_u32_e32 vcc, s18, v7
	v_cndmask_b32_e64 v7, 0, -1, vcc
	v_cmp_eq_u32_e32 vcc, s19, v8
	v_cndmask_b32_e32 v7, v12, v7, vcc
	v_cmp_ne_u32_e32 vcc, 0, v7
	v_cndmask_b32_e64 v7, v13, v11, s[0:1]
	v_cndmask_b32_e32 v8, v9, v10, vcc
	v_cndmask_b32_e32 v7, v4, v7, vcc
.LBB0_4:                                ;   in Loop: Header=BB0_2 Depth=1
	s_andn2_saveexec_b64 s[0:1], s[20:21]
	s_cbranch_execz .LBB0_6
; %bb.5:                                ;   in Loop: Header=BB0_2 Depth=1
	v_cvt_f32_u32_e32 v4, s18
	s_sub_i32 s20, 0, s18
	v_rcp_iflag_f32_e32 v4, v4
	v_mul_f32_e32 v4, 0x4f7ffffe, v4
	v_cvt_u32_f32_e32 v4, v4
	v_mul_lo_u32 v7, s20, v4
	v_mul_hi_u32 v7, v4, v7
	v_add_u32_e32 v4, v4, v7
	v_mul_hi_u32 v4, v5, v4
	v_mul_lo_u32 v7, v4, s18
	v_add_u32_e32 v8, 1, v4
	v_sub_u32_e32 v7, v5, v7
	v_subrev_u32_e32 v9, s18, v7
	v_cmp_le_u32_e32 vcc, s18, v7
	v_cndmask_b32_e32 v7, v7, v9, vcc
	v_cndmask_b32_e32 v4, v4, v8, vcc
	v_add_u32_e32 v8, 1, v4
	v_cmp_le_u32_e32 vcc, s18, v7
	v_cndmask_b32_e32 v7, v4, v8, vcc
	v_mov_b32_e32 v8, v3
.LBB0_6:                                ;   in Loop: Header=BB0_2 Depth=1
	s_or_b64 exec, exec, s[0:1]
	v_mul_lo_u32 v4, v8, s18
	v_mul_lo_u32 v11, v7, s19
	v_mad_u64_u32 v[9:10], s[0:1], v7, s18, 0
	s_load_dwordx2 s[0:1], s[6:7], 0x0
	s_add_u32 s16, s16, 1
	v_add3_u32 v4, v10, v11, v4
	v_sub_co_u32_e32 v5, vcc, v5, v9
	v_subb_co_u32_e32 v4, vcc, v6, v4, vcc
	s_waitcnt lgkmcnt(0)
	v_mul_lo_u32 v4, s0, v4
	v_mul_lo_u32 v6, s1, v5
	v_mad_u64_u32 v[1:2], s[0:1], s0, v5, v[1:2]
	s_addc_u32 s17, s17, 0
	s_add_u32 s6, s6, 8
	v_add3_u32 v2, v6, v2, v4
	v_mov_b32_e32 v4, s10
	v_mov_b32_e32 v5, s11
	s_addc_u32 s7, s7, 0
	v_cmp_ge_u64_e32 vcc, s[16:17], v[4:5]
	s_add_u32 s14, s14, 8
	s_addc_u32 s15, s15, 0
	s_cbranch_vccnz .LBB0_9
; %bb.7:                                ;   in Loop: Header=BB0_2 Depth=1
	v_mov_b32_e32 v5, v7
	v_mov_b32_e32 v6, v8
	s_branch .LBB0_2
.LBB0_8:
	v_mov_b32_e32 v8, v6
	v_mov_b32_e32 v7, v5
.LBB0_9:
	s_lshl_b64 s[0:1], s[10:11], 3
	s_add_u32 s0, s12, s0
	s_addc_u32 s1, s13, s1
	s_load_dwordx2 s[6:7], s[0:1], 0x0
	s_load_dwordx2 s[10:11], s[4:5], 0x20
	s_waitcnt lgkmcnt(0)
	v_mad_u64_u32 v[1:2], s[0:1], s6, v7, v[1:2]
	s_mov_b32 s0, 0x4104105
	v_mul_lo_u32 v3, s6, v8
	v_mul_lo_u32 v4, s7, v7
	v_mul_hi_u32 v5, v0, s0
	v_cmp_gt_u64_e32 vcc, s[10:11], v[7:8]
	v_add3_u32 v2, v4, v2, v3
	v_mul_u32_u24_e32 v3, 63, v5
	v_sub_u32_e32 v4, v0, v3
	v_lshlrev_b64 v[2:3], 2, v[1:2]
	v_mov_b32_e32 v5, 0
	v_mov_b32_e32 v0, v4
	s_and_saveexec_b64 s[4:5], vcc
	s_cbranch_execz .LBB0_13
; %bb.10:
	v_mov_b32_e32 v1, s3
	v_add_co_u32_e64 v0, s[0:1], s2, v2
	v_lshlrev_b64 v[6:7], 2, v[4:5]
	v_addc_co_u32_e64 v1, s[0:1], v1, v3, s[0:1]
	v_add_co_u32_e64 v6, s[0:1], v0, v6
	v_addc_co_u32_e64 v7, s[0:1], v1, v7, s[0:1]
	global_load_dword v8, v[6:7], off
	global_load_dword v9, v[6:7], off offset:252
	global_load_dword v10, v[6:7], off offset:504
	;; [unrolled: 1-line block ×7, first 2 shown]
	v_lshl_add_u32 v6, v4, 2, 0
	v_add_u32_e32 v7, 0x200, v6
	v_add_u32_e32 v16, 0x400, v6
	v_cmp_eq_u32_e64 s[0:1], 62, v4
	s_waitcnt vmcnt(6)
	ds_write2_b32 v6, v8, v9 offset1:63
	s_waitcnt vmcnt(4)
	ds_write2_b32 v6, v10, v11 offset0:126 offset1:189
	s_waitcnt vmcnt(2)
	ds_write2_b32 v7, v12, v13 offset0:124 offset1:187
	;; [unrolled: 2-line block ×3, first 2 shown]
	v_mov_b32_e32 v6, v5
	v_mov_b32_e32 v5, v4
	s_and_saveexec_b64 s[6:7], s[0:1]
	s_cbranch_execz .LBB0_12
; %bb.11:
	global_load_dword v0, v[0:1], off offset:2016
	v_mov_b32_e32 v5, 62
	v_mov_b32_e32 v1, 0
	;; [unrolled: 1-line block ×4, first 2 shown]
	s_waitcnt vmcnt(0)
	ds_write_b32 v1, v0 offset:2016
.LBB0_12:
	s_or_b64 exec, exec, s[6:7]
	v_mov_b32_e32 v0, v4
	v_mov_b32_e32 v4, v5
	;; [unrolled: 1-line block ×3, first 2 shown]
.LBB0_13:
	s_or_b64 exec, exec, s[4:5]
	v_lshlrev_b32_e32 v1, 2, v0
	v_add_u32_e32 v16, 0, v1
	s_waitcnt lgkmcnt(0)
	; wave barrier
	s_waitcnt lgkmcnt(0)
	v_sub_u32_e32 v8, 0, v1
	ds_read_u16 v1, v16
	ds_read_u16 v6, v8 offset:2016
	v_lshlrev_b64 v[4:5], 2, v[4:5]
	v_cmp_ne_u32_e64 s[0:1], 0, v0
	s_waitcnt lgkmcnt(0)
	v_add_f16_e32 v9, v6, v1
	v_sub_f16_e32 v10, v1, v6
	s_and_saveexec_b64 s[4:5], s[0:1]
	s_xor_b64 s[4:5], exec, s[4:5]
	s_cbranch_execz .LBB0_15
; %bb.14:
	v_mov_b32_e32 v7, s9
	v_add_co_u32_e64 v9, s[0:1], s8, v4
	v_addc_co_u32_e64 v10, s[0:1], v7, v5, s[0:1]
	global_load_dword v7, v[9:10], off offset:1988
	ds_read_u16 v9, v8 offset:2018
	ds_read_u16 v10, v16 offset:2
	v_add_f16_e32 v11, v6, v1
	v_sub_f16_e32 v1, v1, v6
	s_waitcnt lgkmcnt(0)
	v_add_f16_e32 v6, v9, v10
	v_sub_f16_e32 v9, v10, v9
	s_waitcnt vmcnt(0)
	v_lshrrev_b32_e32 v10, 16, v7
	v_fma_f16 v12, v1, v10, v11
	v_fma_f16 v13, v6, v10, v9
	v_fma_f16 v11, -v1, v10, v11
	v_fma_f16 v14, v6, v10, -v9
	v_fma_f16 v9, -v7, v6, v12
	v_fma_f16 v10, v1, v7, v13
	v_fma_f16 v6, v7, v6, v11
	v_fma_f16 v1, v1, v7, v14
	v_pack_b32_f16 v1, v6, v1
	ds_write_b32 v8, v1 offset:2016
.LBB0_15:
	s_andn2_saveexec_b64 s[0:1], s[4:5]
	s_cbranch_execz .LBB0_17
; %bb.16:
	v_mov_b32_e32 v1, 0
	ds_read_b32 v6, v1 offset:1008
	s_mov_b32 s4, 0xc0004000
	s_waitcnt lgkmcnt(0)
	v_pk_mul_f16 v6, v6, s4
	ds_write_b32 v1, v6 offset:1008
.LBB0_17:
	s_or_b64 exec, exec, s[0:1]
	v_mov_b32_e32 v1, 0
	s_add_u32 s0, s8, 0x7c4
	v_lshlrev_b64 v[6:7], 2, v[0:1]
	s_addc_u32 s1, s9, 0
	v_mov_b32_e32 v1, s1
	v_add_co_u32_e64 v11, s[0:1], s0, v6
	v_addc_co_u32_e64 v12, s[0:1], v1, v7, s[0:1]
	global_load_dword v1, v[11:12], off offset:252
	global_load_dword v13, v[11:12], off offset:504
	;; [unrolled: 1-line block ×3, first 2 shown]
	s_mov_b32 s0, 0x5040100
	v_perm_b32 v9, v10, v9, s0
	ds_write_b32 v16, v9
	ds_read_b32 v9, v16 offset:252
	ds_read_b32 v10, v8 offset:1764
	v_add_u32_e32 v17, 0x200, v16
	s_movk_i32 s4, 0x3a52
	s_movk_i32 s7, 0x39e0
	;; [unrolled: 1-line block ×3, first 2 shown]
	s_waitcnt lgkmcnt(0)
	v_add_f16_e32 v11, v9, v10
	v_add_f16_sdwa v12, v10, v9 dst_sel:DWORD dst_unused:UNUSED_PAD src0_sel:WORD_1 src1_sel:WORD_1
	v_sub_f16_e32 v15, v9, v10
	v_sub_f16_sdwa v9, v9, v10 dst_sel:DWORD dst_unused:UNUSED_PAD src0_sel:WORD_1 src1_sel:WORD_1
	s_mov_b32 s10, 0xbb00
	s_movk_i32 s5, 0x2b26
	s_movk_i32 s11, 0x3846
	s_mov_b32 s0, 0xb70e
	s_mov_b32 s6, 0xffff
	;; [unrolled: 1-line block ×3, first 2 shown]
	s_waitcnt vmcnt(2)
	v_lshrrev_b32_e32 v10, 16, v1
	v_fma_f16 v18, v15, v10, v11
	v_fma_f16 v19, v12, v10, v9
	v_fma_f16 v11, -v15, v10, v11
	v_fma_f16 v9, v12, v10, -v9
	v_fma_f16 v10, -v1, v12, v18
	v_fma_f16 v18, v15, v1, v19
	v_fma_f16 v11, v1, v12, v11
	;; [unrolled: 1-line block ×3, first 2 shown]
	v_pack_b32_f16 v9, v10, v18
	v_pack_b32_f16 v1, v11, v1
	ds_write_b32 v16, v9 offset:252
	ds_write_b32 v8, v1 offset:1764
	ds_read_b32 v1, v16 offset:504
	ds_read_b32 v9, v8 offset:1512
	s_waitcnt vmcnt(1)
	v_lshrrev_b32_e32 v11, 16, v13
	v_add_u32_e32 v10, 0x400, v16
	s_waitcnt lgkmcnt(0)
	v_add_f16_e32 v12, v1, v9
	v_add_f16_sdwa v15, v9, v1 dst_sel:DWORD dst_unused:UNUSED_PAD src0_sel:WORD_1 src1_sel:WORD_1
	v_sub_f16_e32 v18, v1, v9
	v_sub_f16_sdwa v1, v1, v9 dst_sel:DWORD dst_unused:UNUSED_PAD src0_sel:WORD_1 src1_sel:WORD_1
	v_fma_f16 v9, v18, v11, v12
	v_fma_f16 v19, v15, v11, v1
	v_fma_f16 v12, -v18, v11, v12
	v_fma_f16 v1, v15, v11, -v1
	v_fma_f16 v9, -v13, v15, v9
	v_fma_f16 v11, v18, v13, v19
	v_fma_f16 v12, v13, v15, v12
	;; [unrolled: 1-line block ×3, first 2 shown]
	v_pack_b32_f16 v9, v9, v11
	v_pack_b32_f16 v1, v12, v1
	ds_write_b32 v16, v9 offset:504
	ds_write_b32 v8, v1 offset:1512
	ds_read_b32 v1, v16 offset:756
	ds_read_b32 v9, v8 offset:1260
	s_waitcnt vmcnt(0)
	v_lshrrev_b32_e32 v11, 16, v14
	s_waitcnt lgkmcnt(0)
	v_add_f16_e32 v12, v1, v9
	v_add_f16_sdwa v13, v9, v1 dst_sel:DWORD dst_unused:UNUSED_PAD src0_sel:WORD_1 src1_sel:WORD_1
	v_sub_f16_e32 v15, v1, v9
	v_sub_f16_sdwa v1, v1, v9 dst_sel:DWORD dst_unused:UNUSED_PAD src0_sel:WORD_1 src1_sel:WORD_1
	v_fma_f16 v9, v15, v11, v12
	v_fma_f16 v18, v13, v11, v1
	v_fma_f16 v12, -v15, v11, v12
	v_fma_f16 v1, v13, v11, -v1
	v_fma_f16 v9, -v14, v13, v9
	v_fma_f16 v11, v15, v14, v18
	v_fma_f16 v12, v14, v13, v12
	;; [unrolled: 1-line block ×3, first 2 shown]
	v_pack_b32_f16 v9, v9, v11
	v_pack_b32_f16 v1, v12, v1
	ds_write_b32 v16, v9 offset:756
	ds_write_b32 v8, v1 offset:1260
	s_waitcnt lgkmcnt(0)
	; wave barrier
	s_waitcnt lgkmcnt(0)
	s_waitcnt lgkmcnt(0)
	; wave barrier
	s_waitcnt lgkmcnt(0)
	ds_read2_b32 v[8:9], v16 offset0:72 offset1:135
	ds_read2_b32 v[11:12], v10 offset0:176 offset1:239
	;; [unrolled: 1-line block ×6, first 2 shown]
	ds_read2_b32 v[24:25], v16 offset1:63
	s_waitcnt lgkmcnt(5)
	v_pk_add_f16 v1, v8, v11
	v_pk_add_f16 v13, v9, v12
	v_pk_add_f16 v10, v9, v12 neg_lo:[0,1] neg_hi:[0,1]
	s_waitcnt lgkmcnt(1)
	v_pk_add_f16 v9, v14, v19
	v_pk_add_f16 v8, v8, v11 neg_lo:[0,1] neg_hi:[0,1]
	v_pk_add_f16 v21, v15, v20
	v_pk_add_f16 v20, v15, v20 neg_lo:[0,1] neg_hi:[0,1]
	v_pk_add_f16 v11, v14, v19 neg_lo:[0,1] neg_hi:[0,1]
	v_pk_add_f16 v12, v17, v22
	v_pk_add_f16 v14, v22, v17 neg_lo:[0,1] neg_hi:[0,1]
	v_pk_add_f16 v15, v9, v1
	v_pk_add_f16 v19, v18, v23
	v_pk_add_f16 v23, v23, v18 neg_lo:[0,1] neg_hi:[0,1]
	v_pk_add_f16 v17, v9, v1 neg_lo:[0,1] neg_hi:[0,1]
	;; [unrolled: 1-line block ×3, first 2 shown]
	v_pk_add_f16 v18, v14, v11
	v_pk_add_f16 v9, v12, v9 neg_lo:[0,1] neg_hi:[0,1]
	v_pk_add_f16 v12, v12, v15
	v_pk_add_f16 v22, v8, v14 neg_lo:[0,1] neg_hi:[0,1]
	v_pk_add_f16 v14, v14, v11 neg_lo:[0,1] neg_hi:[0,1]
	;; [unrolled: 1-line block ×3, first 2 shown]
	v_pk_add_f16 v15, v18, v8
	v_pk_mul_f16 v26, v1, s4 op_sel_hi:[1,0]
	v_pk_mul_f16 v1, v17, s7 op_sel_hi:[1,0]
	s_waitcnt lgkmcnt(0)
	v_pk_add_f16 v8, v24, v12
	s_mov_b32 s4, 0xb574
	v_pk_mul_f16 v11, v11, s10 op_sel_hi:[1,0]
	v_pk_fma_f16 v27, v12, s1, v8 op_sel_hi:[1,0,1] neg_lo:[1,0,0] neg_hi:[1,0,0]
	v_pk_add_f16 v12, v26, v1 op_sel:[1,1] op_sel_hi:[0,0] neg_lo:[1,1] neg_hi:[1,1]
	v_pk_add_f16 v17, v12, v27 op_sel:[0,1] op_sel_hi:[1,0]
	v_pk_fma_f16 v12, v22, s4, v11 op_sel_hi:[1,0,1] neg_lo:[1,0,1] neg_hi:[1,0,1]
	v_pk_fma_f16 v1, v9, s5, v1 op_sel_hi:[1,0,1] neg_lo:[1,0,0] neg_hi:[1,0,0]
	;; [unrolled: 1-line block ×3, first 2 shown]
	v_pk_fma_f16 v9, v9, s5, v26 op_sel_hi:[1,0,1]
	v_pk_mul_f16 v22, v22, s4 op_sel_hi:[1,0]
	v_pk_fma_f16 v28, v15, s0, v12 op_sel_hi:[1,0,1]
	v_pk_add_f16 v29, v1, v27
	v_pk_fma_f16 v30, v15, s0, v11 op_sel_hi:[1,0,1]
	v_pk_fma_f16 v14, v14, s11, v22 op_sel_hi:[1,0,1]
	v_pk_add_f16 v22, v9, v27
	v_pk_add_f16 v9, v21, v13
	;; [unrolled: 1-line block ×3, first 2 shown]
	v_pk_add_f16 v1, v17, v28 neg_lo:[0,1] neg_hi:[0,1]
	v_perm_b32 v17, v17, v29, s12
	v_bfi_b32 v28, s6, v30, v28
	v_pk_fma_f16 v14, v15, s0, v14 op_sel_hi:[1,0,1]
	v_pk_add_f16 v26, v19, v9
	v_pk_add_f16 v12, v29, v30 op_sel:[0,1] op_sel_hi:[1,0]
	v_pk_add_f16 v17, v17, v28 neg_lo:[0,1] neg_hi:[0,1]
	v_pk_add_f16 v15, v25, v26
	v_pk_add_f16 v9, v22, v14 op_sel:[0,1] op_sel_hi:[1,0]
	v_pk_add_f16 v14, v22, v14 op_sel:[0,1] op_sel_hi:[1,0] neg_lo:[0,1] neg_hi:[0,1]
	v_bfi_b32 v22, s6, v19, v13
	v_bfi_b32 v25, s6, v21, v19
	v_mad_u32_u24 v24, v0, 24, v16
	v_pk_add_f16 v11, v29, v30 op_sel:[0,1] op_sel_hi:[1,0] neg_lo:[0,1] neg_hi:[0,1]
	v_alignbit_b32 v28, v18, v17, 16
	v_pack_b32_f16 v29, v12, v17
	v_pk_add_f16 v22, v22, v25 neg_lo:[0,1] neg_hi:[0,1]
	v_bfi_b32 v25, s6, v13, v19
	v_bfi_b32 v19, s6, v19, v21
	s_waitcnt lgkmcnt(0)
	; wave barrier
	ds_write2_b32 v24, v29, v28 offset0:4 offset1:5
	v_pk_add_f16 v28, v25, v19 neg_lo:[0,1] neg_hi:[0,1]
	v_alignbit_b32 v19, v10, v23, 16
	v_alignbit_b32 v25, v23, v20, 16
	v_pk_add_f16 v19, v19, v25 neg_lo:[0,1] neg_hi:[0,1]
	v_alignbit_b32 v25, v23, v10, 16
	v_alignbit_b32 v27, v20, v23, 16
	v_pk_add_f16 v23, v23, v20
	v_pk_add_f16 v29, v25, v27 neg_lo:[0,1] neg_hi:[0,1]
	v_pk_add_f16 v25, v23, v10
	s_mov_b32 s4, 0x3a522b26
	v_pk_mul_f16 v23, v22, s4
	s_mov_b32 s11, 0x2b263a52
	v_pk_mul_f16 v25, v25, s0 op_sel_hi:[1,0]
	s_mov_b32 s0, 0xb5743846
	s_mov_b32 s12, 0x3846b574
	v_pk_mul_f16 v27, v19, s0
	v_pk_fma_f16 v26, v26, s1, v15 op_sel_hi:[1,0,1] neg_lo:[1,0,0] neg_hi:[1,0,0]
	v_pk_fma_f16 v19, v28, s11, v23
	v_pk_add_f16 v22, v19, v26
	v_pk_fma_f16 v19, v29, s12, v27
	v_pk_add_f16 v30, v25, v19 op_sel:[1,0] op_sel_hi:[0,1]
	v_pk_add_f16 v19, v22, v30
	v_pk_add_f16 v22, v22, v30 neg_lo:[0,1] neg_hi:[0,1]
	v_bfi_b32 v30, s6, v9, v14
	v_alignbit_b32 v31, v1, v18, 16
	v_bfi_b32 v32, s6, v11, v12
	ds_write2_b32 v24, v8, v30 offset1:1
	v_bfi_b32 v30, s6, v14, v9
	v_cmp_gt_u32_e64 s[0:1], 9, v0
	ds_write2_b32 v24, v31, v32 offset0:2 offset1:3
	ds_write_b32 v24, v30 offset:24
	s_and_saveexec_b64 s[4:5], s[0:1]
	s_cbranch_execz .LBB0_19
; %bb.18:
	v_pk_mul_f16 v28, v28, s11
	v_pk_mul_f16 v29, v29, s12
	v_bfi_b32 v30, s6, v19, v22
	v_add_u32_e32 v31, 0x6e4, v24
	ds_write2_b32 v31, v15, v30 offset1:1
	v_bfi_b32 v31, s6, v28, v23
	v_pk_add_f16 v13, v21, v13 neg_lo:[0,1] neg_hi:[0,1]
	v_pk_add_f16 v10, v20, v10 neg_lo:[0,1] neg_hi:[0,1]
	v_alignbit_b32 v20, v29, v27, 16
	v_alignbit_b32 v27, v27, v29, 16
	v_bfi_b32 v23, s6, v23, v28
	v_pk_fma_f16 v21, v13, s7, v31 op_sel_hi:[1,0,1] neg_lo:[1,0,1] neg_hi:[1,0,1]
	v_pk_fma_f16 v20, v10, s10, v20 op_sel_hi:[1,0,1] neg_lo:[1,0,1] neg_hi:[1,0,1]
	;; [unrolled: 1-line block ×4, first 2 shown]
	v_pk_add_f16 v21, v21, v26
	v_pk_add_f16 v20, v25, v20
	;; [unrolled: 1-line block ×4, first 2 shown]
	v_pk_add_f16 v31, v21, v20 op_sel:[0,1] op_sel_hi:[1,0]
	v_pk_add_f16 v20, v21, v20 op_sel:[0,1] op_sel_hi:[1,0] neg_lo:[0,1] neg_hi:[0,1]
	v_pk_add_f16 v23, v13, v10 op_sel:[0,1] op_sel_hi:[1,0] neg_lo:[0,1] neg_hi:[0,1]
	v_pk_add_f16 v10, v13, v10 op_sel:[0,1] op_sel_hi:[1,0]
	v_add_u32_e32 v30, 0x6ec, v24
	v_bfi_b32 v21, s6, v31, v20
	v_bfi_b32 v13, s6, v23, v10
	ds_write2_b32 v30, v21, v13 offset1:1
	v_add_u32_e32 v13, 0x6f4, v24
	v_bfi_b32 v10, s6, v10, v23
	v_bfi_b32 v20, s6, v20, v31
	ds_write2_b32 v13, v10, v20 offset1:1
	v_bfi_b32 v10, s6, v22, v19
	ds_write_b32 v24, v10 offset:1788
.LBB0_19:
	s_or_b64 exec, exec, s[4:5]
	v_lshrrev_b32_e32 v20, 16, v14
	v_cmp_gt_u32_e64 s[0:1], 56, v0
	v_lshrrev_b32_e32 v21, 16, v22
	v_lshrrev_b32_e32 v10, 16, v18
	;; [unrolled: 1-line block ×5, first 2 shown]
	s_waitcnt lgkmcnt(0)
	; wave barrier
	s_waitcnt lgkmcnt(0)
	s_and_saveexec_b64 s[4:5], s[0:1]
	s_cbranch_execz .LBB0_21
; %bb.20:
	s_movk_i32 s6, 0xffe8
	v_mad_i32_i24 v1, v0, s6, v24
	ds_read2_b32 v[8:9], v16 offset1:56
	ds_read2_b32 v[10:11], v16 offset0:112 offset1:168
	ds_read_b32 v19, v1 offset:1792
	v_add_u32_e32 v1, 0x200, v16
	ds_read2_b32 v[12:13], v1 offset0:96 offset1:152
	v_add_u32_e32 v1, 0x400, v16
	ds_read2_b32 v[14:15], v1 offset0:80 offset1:136
	s_waitcnt lgkmcnt(2)
	v_lshrrev_b32_e32 v21, 16, v19
	v_lshrrev_b32_e32 v20, 16, v9
	;; [unrolled: 1-line block ×4, first 2 shown]
	s_waitcnt lgkmcnt(1)
	v_lshrrev_b32_e32 v17, 16, v12
	v_lshrrev_b32_e32 v18, 16, v13
	s_waitcnt lgkmcnt(0)
	v_lshrrev_b32_e32 v23, 16, v14
.LBB0_21:
	s_or_b64 exec, exec, s[4:5]
	s_waitcnt lgkmcnt(0)
	; wave barrier
	s_and_saveexec_b64 s[4:5], s[0:1]
	s_cbranch_execz .LBB0_23
; %bb.22:
	v_mov_b32_e32 v24, 37
	v_mul_lo_u16_sdwa v24, v0, v24 dst_sel:DWORD dst_unused:UNUSED_PAD src0_sel:BYTE_0 src1_sel:DWORD
	v_sub_u16_sdwa v25, v0, v24 dst_sel:DWORD dst_unused:UNUSED_PAD src0_sel:DWORD src1_sel:BYTE_1
	v_lshrrev_b16_e32 v25, 1, v25
	v_and_b32_e32 v25, 0x7f, v25
	v_add_u16_sdwa v24, v25, v24 dst_sel:DWORD dst_unused:UNUSED_PAD src0_sel:DWORD src1_sel:BYTE_1
	v_lshrrev_b16_e32 v32, 2, v24
	v_mul_lo_u16_e32 v24, 7, v32
	v_sub_u16_e32 v33, v0, v24
	v_mov_b32_e32 v24, 5
	v_lshlrev_b32_sdwa v34, v24, v33 dst_sel:DWORD dst_unused:UNUSED_PAD src0_sel:DWORD src1_sel:BYTE_0
	global_load_dwordx4 v[24:27], v34, s[8:9] offset:16
	global_load_dwordx4 v[28:31], v34, s[8:9]
	v_lshrrev_b32_e32 v34, 16, v15
	s_movk_i32 s0, 0x3a21
	s_movk_i32 s11, 0x318f
	v_lshrrev_b32_e32 v35, 16, v8
	s_movk_i32 s1, 0x3be1
	s_mov_b32 s6, 0xb924
	s_mov_b32 s12, 0xbb84
	;; [unrolled: 1-line block ×3, first 2 shown]
	s_movk_i32 s7, 0x3aee
	s_movk_i32 s10, 0x3579
	s_waitcnt vmcnt(1)
	v_mul_f16_sdwa v36, v34, v26 dst_sel:DWORD dst_unused:UNUSED_PAD src0_sel:DWORD src1_sel:WORD_1
	v_mul_f16_sdwa v37, v23, v25 dst_sel:DWORD dst_unused:UNUSED_PAD src0_sel:DWORD src1_sel:WORD_1
	;; [unrolled: 1-line block ×4, first 2 shown]
	v_fma_f16 v15, v15, v26, v36
	v_fma_f16 v14, v14, v25, v37
	v_mul_f16_sdwa v36, v19, v27 dst_sel:DWORD dst_unused:UNUSED_PAD src0_sel:DWORD src1_sel:WORD_1
	v_mul_f16_sdwa v37, v21, v27 dst_sel:DWORD dst_unused:UNUSED_PAD src0_sel:DWORD src1_sel:WORD_1
	v_fma_f16 v26, v34, v26, -v39
	s_waitcnt vmcnt(0)
	v_mul_f16_sdwa v34, v1, v29 dst_sel:DWORD dst_unused:UNUSED_PAD src0_sel:DWORD src1_sel:WORD_1
	v_mul_f16_sdwa v39, v20, v28 dst_sel:DWORD dst_unused:UNUSED_PAD src0_sel:DWORD src1_sel:WORD_1
	v_fma_f16 v23, v23, v25, -v38
	v_mul_f16_sdwa v25, v11, v30 dst_sel:DWORD dst_unused:UNUSED_PAD src0_sel:DWORD src1_sel:WORD_1
	v_mul_f16_sdwa v38, v22, v30 dst_sel:DWORD dst_unused:UNUSED_PAD src0_sel:DWORD src1_sel:WORD_1
	v_fma_f16 v21, v21, v27, -v36
	v_mul_f16_sdwa v36, v10, v29 dst_sel:DWORD dst_unused:UNUSED_PAD src0_sel:DWORD src1_sel:WORD_1
	v_fma_f16 v19, v19, v27, v37
	v_mul_f16_sdwa v37, v9, v28 dst_sel:DWORD dst_unused:UNUSED_PAD src0_sel:DWORD src1_sel:WORD_1
	v_fma_f16 v10, v10, v29, v34
	v_fma_f16 v9, v9, v28, v39
	v_mul_f16_sdwa v40, v18, v24 dst_sel:DWORD dst_unused:UNUSED_PAD src0_sel:DWORD src1_sel:WORD_1
	v_mul_f16_sdwa v41, v13, v24 dst_sel:DWORD dst_unused:UNUSED_PAD src0_sel:DWORD src1_sel:WORD_1
	;; [unrolled: 1-line block ×3, first 2 shown]
	v_fma_f16 v11, v11, v30, v38
	v_fma_f16 v22, v22, v30, -v25
	v_fma_f16 v1, v1, v29, -v36
	v_add_f16_e32 v29, v10, v15
	v_add_f16_e32 v30, v9, v19
	v_fma_f16 v18, v18, v24, -v41
	v_fma_f16 v13, v13, v24, v40
	v_mul_f16_sdwa v24, v12, v31 dst_sel:DWORD dst_unused:UNUSED_PAD src0_sel:DWORD src1_sel:WORD_1
	v_fma_f16 v12, v12, v31, v27
	v_sub_f16_e32 v27, v1, v26
	v_sub_f16_e32 v9, v9, v19
	v_add_f16_e32 v19, v11, v14
	v_add_f16_e32 v1, v1, v26
	;; [unrolled: 1-line block ×3, first 2 shown]
	v_fma_f16 v20, v20, v28, -v37
	v_add_f16_e32 v40, v19, v26
	v_fma_f16 v17, v17, v31, -v24
	v_sub_f16_e32 v24, v20, v21
	v_add_f16_e32 v28, v12, v13
	v_sub_f16_e32 v11, v11, v14
	v_sub_f16_e32 v14, v12, v13
	v_add_f16_e32 v20, v20, v21
	v_add_f16_e32 v12, v12, v40
	v_sub_f16_e32 v25, v22, v23
	v_sub_f16_e32 v10, v10, v15
	v_add_f16_e32 v15, v17, v18
	v_add_f16_e32 v22, v22, v23
	v_sub_f16_e32 v21, v17, v18
	v_fma_f16 v23, v29, s0, v8
	v_add_f16_e32 v31, v8, v19
	v_add_f16_e32 v37, v1, v20
	;; [unrolled: 1-line block ×4, first 2 shown]
	v_fma_f16 v34, v28, s0, v8
	v_fma_f16 v36, v30, s0, v8
	v_fma_f16 v26, v26, -0.5, v31
	v_add_f16_e32 v31, v15, v37
	v_add_f16_e32 v37, v22, v37
	v_fma_f16 v23, v28, s11, v23
	v_add_f16_e32 v8, v8, v12
	v_mul_f16_e32 v12, 0xb924, v21
	v_mul_f16_e32 v39, 0x3be1, v21
	v_add_f16_e32 v17, v17, v37
	v_fma_f16 v23, v19, -0.5, v23
	v_fma_f16 v12, v24, s1, v12
	v_add_f16_e32 v40, v21, v24
	v_fma_f16 v34, v30, s11, v34
	v_fma_f16 v39, v27, s6, -v39
	v_add_f16_e32 v13, v18, v17
	v_fma_f16 v17, v30, s12, v23
	v_fma_f16 v12, v25, s13, v12
	v_mul_f16_e32 v23, 0x3924, v24
	v_sub_f16_e32 v40, v40, v27
	v_fma_f16 v37, v25, s7, v39
	v_fma_f16 v12, v27, s10, v12
	;; [unrolled: 1-line block ×3, first 2 shown]
	v_fma_f16 v27, v19, -0.5, v34
	v_fma_f16 v18, v24, s10, v37
	v_mul_f16_e32 v24, 0x3be1, v14
	v_fma_f16 v27, v29, s12, v27
	v_fma_f16 v29, v29, s11, v36
	v_fma_f16 v24, v10, s6, -v24
	v_fma_f16 v19, v19, -0.5, v29
	v_mul_f16_e32 v29, 0xb924, v14
	v_fma_f16 v24, v11, s7, v24
	v_fma_f16 v29, v9, s1, v29
	;; [unrolled: 1-line block ×5, first 2 shown]
	v_add_f16_e32 v30, v14, v9
	v_fma_f16 v29, v11, s13, v29
	v_fma_f16 v28, v20, s11, v28
	v_mul_f16_e32 v9, 0x3924, v9
	v_fma_f16 v23, v25, s7, v23
	v_sub_f16_e32 v30, v30, v10
	v_fma_f16 v29, v10, s10, v29
	v_fma_f16 v28, v22, -0.5, v28
	v_fma_f16 v9, v10, s1, v9
	v_fma_f16 v10, v20, s0, v35
	;; [unrolled: 1-line block ×8, first 2 shown]
	v_fma_f16 v1, v22, -0.5, v1
	v_add_f16_e32 v38, v35, v22
	v_fma_f16 v23, v22, -0.5, v23
	v_fma_f16 v9, v14, s10, v9
	v_fma_f16 v1, v15, s12, v1
	v_mov_b32_e32 v11, 2
	v_fma_f16 v31, v31, -0.5, v38
	v_fma_f16 v23, v20, s12, v23
	v_add_f16_e32 v13, v35, v13
	v_sub_f16_e32 v19, v19, v21
	v_add_f16_e32 v1, v9, v1
	v_mul_u32_u24_e32 v10, 0xfc, v32
	v_lshlrev_b32_sdwa v11, v11, v33 dst_sel:DWORD dst_unused:UNUSED_PAD src0_sel:DWORD src1_sel:BYTE_0
	v_sub_f16_e32 v17, v17, v18
	v_add_f16_e32 v23, v24, v23
	v_fma_f16 v25, v40, s13, v26
	v_fma_f16 v31, v30, s7, v31
	v_sub_f16_e32 v27, v27, v12
	v_add_f16_e32 v28, v29, v28
	v_fma_f16 v9, v9, -2.0, v1
	v_add3_u32 v10, 0, v10, v11
	v_pack_b32_f16 v8, v8, v13
	v_pack_b32_f16 v1, v19, v1
	v_fma_f16 v18, v18, 2.0, v17
	v_fma_f16 v24, v24, -2.0, v23
	v_mul_f16_e32 v26, 0x3aee, v40
	v_mul_f16_e32 v30, 0x3aee, v30
	ds_write2_b32 v10, v8, v1 offset1:7
	v_pack_b32_f16 v1, v27, v28
	v_pack_b32_f16 v8, v25, v31
	v_fma_f16 v26, v26, 2.0, v25
	v_fma_f16 v30, v30, -2.0, v31
	v_fma_f16 v12, v12, 2.0, v27
	v_fma_f16 v29, v29, -2.0, v28
	ds_write2_b32 v10, v1, v8 offset0:14 offset1:21
	v_pack_b32_f16 v1, v17, v23
	v_pack_b32_f16 v8, v18, v24
	v_fma_f16 v21, v21, 2.0, v19
	ds_write2_b32 v10, v1, v8 offset0:28 offset1:35
	v_pack_b32_f16 v1, v26, v30
	v_pack_b32_f16 v8, v12, v29
	ds_write2_b32 v10, v1, v8 offset0:42 offset1:49
	v_pack_b32_f16 v1, v21, v9
	ds_write_b32 v10, v1 offset:224
.LBB0_23:
	s_or_b64 exec, exec, s[4:5]
	v_mul_u32_u24_e32 v1, 3, v0
	v_lshlrev_b32_e32 v1, 2, v1
	s_waitcnt lgkmcnt(0)
	; wave barrier
	s_waitcnt lgkmcnt(0)
	global_load_dwordx3 v[8:10], v1, s[8:9] offset:224
	ds_read2_b32 v[11:12], v16 offset0:126 offset1:189
	v_add_u32_e32 v1, 0x200, v16
	v_add_u32_e32 v15, 0x400, v16
	ds_read_u16 v21, v16 offset:1766
	ds_read2_b32 v[13:14], v16 offset1:63
	ds_read2_b32 v[17:18], v1 offset0:124 offset1:187
	ds_read2_b32 v[19:20], v15 offset0:122 offset1:185
	s_waitcnt lgkmcnt(0)
	v_lshrrev_b32_e32 v22, 16, v11
	v_lshrrev_b32_e32 v23, 16, v12
	;; [unrolled: 1-line block ×7, first 2 shown]
	; wave barrier
	v_add_co_u32_e64 v4, s[0:1], s8, v4
	s_waitcnt vmcnt(0)
	v_mul_f16_sdwa v29, v8, v22 dst_sel:DWORD dst_unused:UNUSED_PAD src0_sel:WORD_1 src1_sel:DWORD
	v_mul_f16_sdwa v30, v8, v11 dst_sel:DWORD dst_unused:UNUSED_PAD src0_sel:WORD_1 src1_sel:DWORD
	;; [unrolled: 1-line block ×10, first 2 shown]
	v_mul_f16_sdwa v39, v21, v10 dst_sel:DWORD dst_unused:UNUSED_PAD src0_sel:DWORD src1_sel:WORD_1
	v_mul_f16_sdwa v40, v10, v20 dst_sel:DWORD dst_unused:UNUSED_PAD src0_sel:WORD_1 src1_sel:DWORD
	v_fma_f16 v11, v8, v11, v29
	v_fma_f16 v12, v8, v12, v33
	;; [unrolled: 1-line block ×4, first 2 shown]
	v_fma_f16 v22, v8, v22, -v30
	v_fma_f16 v26, v9, v26, -v32
	;; [unrolled: 1-line block ×3, first 2 shown]
	v_fma_f16 v19, v10, v19, v37
	v_fma_f16 v20, v10, v20, v39
	v_fma_f16 v8, v8, v23, -v34
	v_fma_f16 v9, v9, v28, -v36
	;; [unrolled: 1-line block ×3, first 2 shown]
	v_sub_f16_e32 v17, v13, v17
	v_sub_f16_e32 v21, v24, v26
	;; [unrolled: 1-line block ×8, first 2 shown]
	v_fma_f16 v13, v13, 2.0, -v17
	v_fma_f16 v24, v24, 2.0, -v21
	;; [unrolled: 1-line block ×8, first 2 shown]
	v_add_f16_e32 v23, v17, v23
	v_sub_f16_e32 v19, v21, v19
	v_add_f16_e32 v10, v18, v10
	v_sub_f16_e32 v20, v9, v20
	v_sub_f16_e32 v11, v13, v11
	;; [unrolled: 1-line block ×5, first 2 shown]
	v_fma_f16 v17, v17, 2.0, -v23
	v_fma_f16 v21, v21, 2.0, -v19
	v_fma_f16 v18, v18, 2.0, -v10
	v_fma_f16 v9, v9, 2.0, -v20
	v_pack_b32_f16 v19, v23, v19
	v_pack_b32_f16 v10, v10, v20
	v_fma_f16 v13, v13, 2.0, -v11
	v_fma_f16 v20, v24, 2.0, -v22
	v_fma_f16 v14, v14, 2.0, -v12
	v_fma_f16 v23, v25, 2.0, -v8
	v_pack_b32_f16 v11, v11, v22
	v_pack_b32_f16 v8, v12, v8
	;; [unrolled: 1-line block ×5, first 2 shown]
	ds_write2_b32 v16, v11, v19 offset0:126 offset1:189
	v_pack_b32_f16 v11, v14, v23
	ds_write2_b32 v15, v8, v10 offset0:122 offset1:185
	ds_write2_b32 v16, v12, v17 offset1:63
	ds_write2_b32 v1, v11, v9 offset0:124 offset1:187
	v_mov_b32_e32 v8, s9
	v_addc_co_u32_e64 v5, s[0:1], v8, v5, s[0:1]
	v_add_co_u32_e64 v6, s[0:1], s8, v6
	s_waitcnt lgkmcnt(0)
	; wave barrier
	s_waitcnt lgkmcnt(0)
	v_addc_co_u32_e64 v7, s[0:1], v8, v7, s[0:1]
	global_load_dword v12, v[4:5], off offset:980
	global_load_dword v13, v[6:7], off offset:1232
	;; [unrolled: 1-line block ×4, first 2 shown]
	ds_read2_b32 v[4:5], v16 offset1:63
	ds_read2_b32 v[6:7], v1 offset0:124 offset1:187
	ds_read2_b32 v[8:9], v16 offset0:126 offset1:189
	;; [unrolled: 1-line block ×3, first 2 shown]
	s_mov_b32 s0, 0xffff
	s_waitcnt lgkmcnt(0)
	; wave barrier
	s_waitcnt vmcnt(3) lgkmcnt(0)
	v_pk_mul_f16 v18, v12, v6 op_sel:[0,1]
	s_waitcnt vmcnt(2)
	v_pk_mul_f16 v19, v13, v7 op_sel:[0,1]
	s_waitcnt vmcnt(1)
	;; [unrolled: 2-line block ×3, first 2 shown]
	v_pk_mul_f16 v21, v17, v11 op_sel:[0,1]
	v_pk_fma_f16 v22, v12, v6, v18 op_sel:[0,0,1] op_sel_hi:[1,1,0]
	v_pk_fma_f16 v6, v12, v6, v18 op_sel:[0,0,1] op_sel_hi:[1,0,0] neg_lo:[1,0,0] neg_hi:[1,0,0]
	v_pk_fma_f16 v12, v13, v7, v19 op_sel:[0,0,1] op_sel_hi:[1,1,0]
	v_pk_fma_f16 v7, v13, v7, v19 op_sel:[0,0,1] op_sel_hi:[1,0,0] neg_lo:[1,0,0] neg_hi:[1,0,0]
	;; [unrolled: 2-line block ×4, first 2 shown]
	v_bfi_b32 v6, s0, v22, v6
	v_bfi_b32 v7, s0, v12, v7
	;; [unrolled: 1-line block ×4, first 2 shown]
	v_pk_add_f16 v6, v4, v6 neg_lo:[0,1] neg_hi:[0,1]
	v_pk_add_f16 v7, v5, v7 neg_lo:[0,1] neg_hi:[0,1]
	;; [unrolled: 1-line block ×4, first 2 shown]
	v_pk_fma_f16 v4, v4, 2.0, v6 op_sel_hi:[1,0,1] neg_lo:[0,0,1] neg_hi:[0,0,1]
	v_pk_fma_f16 v5, v5, 2.0, v7 op_sel_hi:[1,0,1] neg_lo:[0,0,1] neg_hi:[0,0,1]
	;; [unrolled: 1-line block ×4, first 2 shown]
	ds_write2_b32 v1, v6, v7 offset0:124 offset1:187
	ds_write2_b32 v15, v10, v11 offset0:122 offset1:185
	ds_write2_b32 v16, v4, v5 offset1:63
	ds_write2_b32 v16, v8, v9 offset0:126 offset1:189
	s_waitcnt lgkmcnt(0)
	; wave barrier
	s_waitcnt lgkmcnt(0)
	s_and_saveexec_b64 s[0:1], vcc
	s_cbranch_execz .LBB0_25
; %bb.24:
	v_lshl_add_u32 v6, v0, 2, 0
	v_mov_b32_e32 v1, 0
	ds_read2_b32 v[4:5], v6 offset1:63
	v_mov_b32_e32 v7, s3
	v_add_co_u32_e32 v8, vcc, s2, v2
	v_addc_co_u32_e32 v7, vcc, v7, v3, vcc
	v_lshlrev_b64 v[2:3], 2, v[0:1]
	v_add_co_u32_e32 v2, vcc, v8, v2
	v_addc_co_u32_e32 v3, vcc, v7, v3, vcc
	s_waitcnt lgkmcnt(0)
	global_store_dword v[2:3], v4, off
	v_add_u32_e32 v2, 63, v0
	v_mov_b32_e32 v3, v1
	v_lshlrev_b64 v[2:3], 2, v[2:3]
	v_add_co_u32_e32 v2, vcc, v8, v2
	v_addc_co_u32_e32 v3, vcc, v7, v3, vcc
	global_store_dword v[2:3], v5, off
	v_add_u32_e32 v2, 0x7e, v0
	v_mov_b32_e32 v3, v1
	ds_read2_b32 v[4:5], v6 offset0:126 offset1:189
	v_lshlrev_b64 v[2:3], 2, v[2:3]
	v_add_co_u32_e32 v2, vcc, v8, v2
	v_addc_co_u32_e32 v3, vcc, v7, v3, vcc
	s_waitcnt lgkmcnt(0)
	global_store_dword v[2:3], v4, off
	v_add_u32_e32 v2, 0xbd, v0
	v_mov_b32_e32 v3, v1
	v_lshlrev_b64 v[2:3], 2, v[2:3]
	v_add_u32_e32 v4, 0x200, v6
	v_add_co_u32_e32 v2, vcc, v8, v2
	v_addc_co_u32_e32 v3, vcc, v7, v3, vcc
	global_store_dword v[2:3], v5, off
	v_add_u32_e32 v2, 0xfc, v0
	v_mov_b32_e32 v3, v1
	ds_read2_b32 v[4:5], v4 offset0:124 offset1:187
	v_lshlrev_b64 v[2:3], 2, v[2:3]
	v_add_co_u32_e32 v2, vcc, v8, v2
	v_addc_co_u32_e32 v3, vcc, v7, v3, vcc
	s_waitcnt lgkmcnt(0)
	global_store_dword v[2:3], v4, off
	v_add_u32_e32 v2, 0x13b, v0
	v_mov_b32_e32 v3, v1
	v_lshlrev_b64 v[2:3], 2, v[2:3]
	v_add_u32_e32 v4, 0x400, v6
	v_add_co_u32_e32 v2, vcc, v8, v2
	v_addc_co_u32_e32 v3, vcc, v7, v3, vcc
	global_store_dword v[2:3], v5, off
	v_add_u32_e32 v2, 0x17a, v0
	v_mov_b32_e32 v3, v1
	v_lshlrev_b64 v[2:3], 2, v[2:3]
	ds_read2_b32 v[4:5], v4 offset0:122 offset1:185
	v_add_u32_e32 v0, 0x1b9, v0
	v_add_co_u32_e32 v2, vcc, v8, v2
	v_lshlrev_b64 v[0:1], 2, v[0:1]
	v_addc_co_u32_e32 v3, vcc, v7, v3, vcc
	v_add_co_u32_e32 v0, vcc, v8, v0
	v_addc_co_u32_e32 v1, vcc, v7, v1, vcc
	s_waitcnt lgkmcnt(0)
	global_store_dword v[2:3], v4, off
	global_store_dword v[0:1], v5, off
.LBB0_25:
	s_endpgm
	.section	.rodata,"a",@progbits
	.p2align	6, 0x0
	.amdhsa_kernel fft_rtc_back_len504_factors_7_9_4_2_wgs_63_tpt_63_half_ip_CI_unitstride_sbrr_C2R_dirReg
		.amdhsa_group_segment_fixed_size 0
		.amdhsa_private_segment_fixed_size 0
		.amdhsa_kernarg_size 88
		.amdhsa_user_sgpr_count 6
		.amdhsa_user_sgpr_private_segment_buffer 1
		.amdhsa_user_sgpr_dispatch_ptr 0
		.amdhsa_user_sgpr_queue_ptr 0
		.amdhsa_user_sgpr_kernarg_segment_ptr 1
		.amdhsa_user_sgpr_dispatch_id 0
		.amdhsa_user_sgpr_flat_scratch_init 0
		.amdhsa_user_sgpr_private_segment_size 0
		.amdhsa_uses_dynamic_stack 0
		.amdhsa_system_sgpr_private_segment_wavefront_offset 0
		.amdhsa_system_sgpr_workgroup_id_x 1
		.amdhsa_system_sgpr_workgroup_id_y 0
		.amdhsa_system_sgpr_workgroup_id_z 0
		.amdhsa_system_sgpr_workgroup_info 0
		.amdhsa_system_vgpr_workitem_id 0
		.amdhsa_next_free_vgpr 42
		.amdhsa_next_free_sgpr 22
		.amdhsa_reserve_vcc 1
		.amdhsa_reserve_flat_scratch 0
		.amdhsa_float_round_mode_32 0
		.amdhsa_float_round_mode_16_64 0
		.amdhsa_float_denorm_mode_32 3
		.amdhsa_float_denorm_mode_16_64 3
		.amdhsa_dx10_clamp 1
		.amdhsa_ieee_mode 1
		.amdhsa_fp16_overflow 0
		.amdhsa_exception_fp_ieee_invalid_op 0
		.amdhsa_exception_fp_denorm_src 0
		.amdhsa_exception_fp_ieee_div_zero 0
		.amdhsa_exception_fp_ieee_overflow 0
		.amdhsa_exception_fp_ieee_underflow 0
		.amdhsa_exception_fp_ieee_inexact 0
		.amdhsa_exception_int_div_zero 0
	.end_amdhsa_kernel
	.text
.Lfunc_end0:
	.size	fft_rtc_back_len504_factors_7_9_4_2_wgs_63_tpt_63_half_ip_CI_unitstride_sbrr_C2R_dirReg, .Lfunc_end0-fft_rtc_back_len504_factors_7_9_4_2_wgs_63_tpt_63_half_ip_CI_unitstride_sbrr_C2R_dirReg
                                        ; -- End function
	.section	.AMDGPU.csdata,"",@progbits
; Kernel info:
; codeLenInByte = 6080
; NumSgprs: 26
; NumVgprs: 42
; ScratchSize: 0
; MemoryBound: 0
; FloatMode: 240
; IeeeMode: 1
; LDSByteSize: 0 bytes/workgroup (compile time only)
; SGPRBlocks: 3
; VGPRBlocks: 10
; NumSGPRsForWavesPerEU: 26
; NumVGPRsForWavesPerEU: 42
; Occupancy: 5
; WaveLimiterHint : 1
; COMPUTE_PGM_RSRC2:SCRATCH_EN: 0
; COMPUTE_PGM_RSRC2:USER_SGPR: 6
; COMPUTE_PGM_RSRC2:TRAP_HANDLER: 0
; COMPUTE_PGM_RSRC2:TGID_X_EN: 1
; COMPUTE_PGM_RSRC2:TGID_Y_EN: 0
; COMPUTE_PGM_RSRC2:TGID_Z_EN: 0
; COMPUTE_PGM_RSRC2:TIDIG_COMP_CNT: 0
	.type	__hip_cuid_cfc60d305605bd5a,@object ; @__hip_cuid_cfc60d305605bd5a
	.section	.bss,"aw",@nobits
	.globl	__hip_cuid_cfc60d305605bd5a
__hip_cuid_cfc60d305605bd5a:
	.byte	0                               ; 0x0
	.size	__hip_cuid_cfc60d305605bd5a, 1

	.ident	"AMD clang version 19.0.0git (https://github.com/RadeonOpenCompute/llvm-project roc-6.4.0 25133 c7fe45cf4b819c5991fe208aaa96edf142730f1d)"
	.section	".note.GNU-stack","",@progbits
	.addrsig
	.addrsig_sym __hip_cuid_cfc60d305605bd5a
	.amdgpu_metadata
---
amdhsa.kernels:
  - .args:
      - .actual_access:  read_only
        .address_space:  global
        .offset:         0
        .size:           8
        .value_kind:     global_buffer
      - .offset:         8
        .size:           8
        .value_kind:     by_value
      - .actual_access:  read_only
        .address_space:  global
        .offset:         16
        .size:           8
        .value_kind:     global_buffer
      - .actual_access:  read_only
        .address_space:  global
        .offset:         24
        .size:           8
        .value_kind:     global_buffer
      - .offset:         32
        .size:           8
        .value_kind:     by_value
      - .actual_access:  read_only
        .address_space:  global
        .offset:         40
        .size:           8
        .value_kind:     global_buffer
      - .actual_access:  read_only
        .address_space:  global
        .offset:         48
        .size:           8
        .value_kind:     global_buffer
      - .offset:         56
        .size:           4
        .value_kind:     by_value
      - .actual_access:  read_only
        .address_space:  global
        .offset:         64
        .size:           8
        .value_kind:     global_buffer
      - .actual_access:  read_only
        .address_space:  global
        .offset:         72
        .size:           8
        .value_kind:     global_buffer
      - .address_space:  global
        .offset:         80
        .size:           8
        .value_kind:     global_buffer
    .group_segment_fixed_size: 0
    .kernarg_segment_align: 8
    .kernarg_segment_size: 88
    .language:       OpenCL C
    .language_version:
      - 2
      - 0
    .max_flat_workgroup_size: 63
    .name:           fft_rtc_back_len504_factors_7_9_4_2_wgs_63_tpt_63_half_ip_CI_unitstride_sbrr_C2R_dirReg
    .private_segment_fixed_size: 0
    .sgpr_count:     26
    .sgpr_spill_count: 0
    .symbol:         fft_rtc_back_len504_factors_7_9_4_2_wgs_63_tpt_63_half_ip_CI_unitstride_sbrr_C2R_dirReg.kd
    .uniform_work_group_size: 1
    .uses_dynamic_stack: false
    .vgpr_count:     42
    .vgpr_spill_count: 0
    .wavefront_size: 64
amdhsa.target:   amdgcn-amd-amdhsa--gfx906
amdhsa.version:
  - 1
  - 2
...

	.end_amdgpu_metadata
